;; amdgpu-corpus repo=ROCm/rocFFT kind=compiled arch=gfx906 opt=O3
	.text
	.amdgcn_target "amdgcn-amd-amdhsa--gfx906"
	.amdhsa_code_object_version 6
	.protected	fft_rtc_back_len300_factors_10_10_3_wgs_60_tpt_30_halfLds_sp_ip_CI_sbrr_dirReg ; -- Begin function fft_rtc_back_len300_factors_10_10_3_wgs_60_tpt_30_halfLds_sp_ip_CI_sbrr_dirReg
	.globl	fft_rtc_back_len300_factors_10_10_3_wgs_60_tpt_30_halfLds_sp_ip_CI_sbrr_dirReg
	.p2align	8
	.type	fft_rtc_back_len300_factors_10_10_3_wgs_60_tpt_30_halfLds_sp_ip_CI_sbrr_dirReg,@function
fft_rtc_back_len300_factors_10_10_3_wgs_60_tpt_30_halfLds_sp_ip_CI_sbrr_dirReg: ; @fft_rtc_back_len300_factors_10_10_3_wgs_60_tpt_30_halfLds_sp_ip_CI_sbrr_dirReg
; %bb.0:
	s_load_dwordx2 s[14:15], s[4:5], 0x18
	s_load_dwordx4 s[8:11], s[4:5], 0x0
	s_load_dwordx2 s[12:13], s[4:5], 0x50
	v_mul_u32_u24_e32 v1, 0x889, v0
	v_lshrrev_b32_e32 v28, 16, v1
	s_waitcnt lgkmcnt(0)
	s_load_dwordx2 s[2:3], s[14:15], 0x0
	v_cmp_lt_u64_e64 s[0:1], s[10:11], 2
	v_mov_b32_e32 v3, 0
	v_mov_b32_e32 v1, 0
	v_lshl_add_u32 v5, s6, 1, v28
	v_mov_b32_e32 v6, v3
	s_and_b64 vcc, exec, s[0:1]
	v_mov_b32_e32 v2, 0
	s_cbranch_vccnz .LBB0_8
; %bb.1:
	s_load_dwordx2 s[0:1], s[4:5], 0x10
	s_add_u32 s6, s14, 8
	s_addc_u32 s7, s15, 0
	v_mov_b32_e32 v1, 0
	v_mov_b32_e32 v2, 0
	s_waitcnt lgkmcnt(0)
	s_add_u32 s16, s0, 8
	s_addc_u32 s17, s1, 0
	s_mov_b64 s[18:19], 1
.LBB0_2:                                ; =>This Inner Loop Header: Depth=1
	s_load_dwordx2 s[20:21], s[16:17], 0x0
                                        ; implicit-def: $vgpr7_vgpr8
	s_waitcnt lgkmcnt(0)
	v_or_b32_e32 v4, s21, v6
	v_cmp_ne_u64_e32 vcc, 0, v[3:4]
	s_and_saveexec_b64 s[0:1], vcc
	s_xor_b64 s[22:23], exec, s[0:1]
	s_cbranch_execz .LBB0_4
; %bb.3:                                ;   in Loop: Header=BB0_2 Depth=1
	v_cvt_f32_u32_e32 v4, s20
	v_cvt_f32_u32_e32 v7, s21
	s_sub_u32 s0, 0, s20
	s_subb_u32 s1, 0, s21
	v_mac_f32_e32 v4, 0x4f800000, v7
	v_rcp_f32_e32 v4, v4
	v_mul_f32_e32 v4, 0x5f7ffffc, v4
	v_mul_f32_e32 v7, 0x2f800000, v4
	v_trunc_f32_e32 v7, v7
	v_mac_f32_e32 v4, 0xcf800000, v7
	v_cvt_u32_f32_e32 v7, v7
	v_cvt_u32_f32_e32 v4, v4
	v_mul_lo_u32 v8, s0, v7
	v_mul_hi_u32 v9, s0, v4
	v_mul_lo_u32 v11, s1, v4
	v_mul_lo_u32 v10, s0, v4
	v_add_u32_e32 v8, v9, v8
	v_add_u32_e32 v8, v8, v11
	v_mul_hi_u32 v9, v4, v10
	v_mul_lo_u32 v11, v4, v8
	v_mul_hi_u32 v13, v4, v8
	v_mul_hi_u32 v12, v7, v10
	v_mul_lo_u32 v10, v7, v10
	v_mul_hi_u32 v14, v7, v8
	v_add_co_u32_e32 v9, vcc, v9, v11
	v_addc_co_u32_e32 v11, vcc, 0, v13, vcc
	v_mul_lo_u32 v8, v7, v8
	v_add_co_u32_e32 v9, vcc, v9, v10
	v_addc_co_u32_e32 v9, vcc, v11, v12, vcc
	v_addc_co_u32_e32 v10, vcc, 0, v14, vcc
	v_add_co_u32_e32 v8, vcc, v9, v8
	v_addc_co_u32_e32 v9, vcc, 0, v10, vcc
	v_add_co_u32_e32 v4, vcc, v4, v8
	v_addc_co_u32_e32 v7, vcc, v7, v9, vcc
	v_mul_lo_u32 v8, s0, v7
	v_mul_hi_u32 v9, s0, v4
	v_mul_lo_u32 v10, s1, v4
	v_mul_lo_u32 v11, s0, v4
	v_add_u32_e32 v8, v9, v8
	v_add_u32_e32 v8, v8, v10
	v_mul_lo_u32 v12, v4, v8
	v_mul_hi_u32 v13, v4, v11
	v_mul_hi_u32 v14, v4, v8
	v_mul_hi_u32 v10, v7, v11
	v_mul_lo_u32 v11, v7, v11
	v_mul_hi_u32 v9, v7, v8
	v_add_co_u32_e32 v12, vcc, v13, v12
	v_addc_co_u32_e32 v13, vcc, 0, v14, vcc
	v_mul_lo_u32 v8, v7, v8
	v_add_co_u32_e32 v11, vcc, v12, v11
	v_addc_co_u32_e32 v10, vcc, v13, v10, vcc
	v_addc_co_u32_e32 v9, vcc, 0, v9, vcc
	v_add_co_u32_e32 v8, vcc, v10, v8
	v_addc_co_u32_e32 v9, vcc, 0, v9, vcc
	v_add_co_u32_e32 v4, vcc, v4, v8
	v_addc_co_u32_e32 v9, vcc, v7, v9, vcc
	v_mad_u64_u32 v[7:8], s[0:1], v5, v9, 0
	v_mul_hi_u32 v10, v5, v4
	v_add_co_u32_e32 v11, vcc, v10, v7
	v_addc_co_u32_e32 v12, vcc, 0, v8, vcc
	v_mad_u64_u32 v[7:8], s[0:1], v6, v4, 0
	v_mad_u64_u32 v[9:10], s[0:1], v6, v9, 0
	v_add_co_u32_e32 v4, vcc, v11, v7
	v_addc_co_u32_e32 v4, vcc, v12, v8, vcc
	v_addc_co_u32_e32 v7, vcc, 0, v10, vcc
	v_add_co_u32_e32 v4, vcc, v4, v9
	v_addc_co_u32_e32 v9, vcc, 0, v7, vcc
	v_mul_lo_u32 v10, s21, v4
	v_mul_lo_u32 v11, s20, v9
	v_mad_u64_u32 v[7:8], s[0:1], s20, v4, 0
	v_add3_u32 v8, v8, v11, v10
	v_sub_u32_e32 v10, v6, v8
	v_mov_b32_e32 v11, s21
	v_sub_co_u32_e32 v7, vcc, v5, v7
	v_subb_co_u32_e64 v10, s[0:1], v10, v11, vcc
	v_subrev_co_u32_e64 v11, s[0:1], s20, v7
	v_subbrev_co_u32_e64 v10, s[0:1], 0, v10, s[0:1]
	v_cmp_le_u32_e64 s[0:1], s21, v10
	v_cndmask_b32_e64 v12, 0, -1, s[0:1]
	v_cmp_le_u32_e64 s[0:1], s20, v11
	v_cndmask_b32_e64 v11, 0, -1, s[0:1]
	v_cmp_eq_u32_e64 s[0:1], s21, v10
	v_cndmask_b32_e64 v10, v12, v11, s[0:1]
	v_add_co_u32_e64 v11, s[0:1], 2, v4
	v_addc_co_u32_e64 v12, s[0:1], 0, v9, s[0:1]
	v_add_co_u32_e64 v13, s[0:1], 1, v4
	v_addc_co_u32_e64 v14, s[0:1], 0, v9, s[0:1]
	v_subb_co_u32_e32 v8, vcc, v6, v8, vcc
	v_cmp_ne_u32_e64 s[0:1], 0, v10
	v_cmp_le_u32_e32 vcc, s21, v8
	v_cndmask_b32_e64 v10, v14, v12, s[0:1]
	v_cndmask_b32_e64 v12, 0, -1, vcc
	v_cmp_le_u32_e32 vcc, s20, v7
	v_cndmask_b32_e64 v7, 0, -1, vcc
	v_cmp_eq_u32_e32 vcc, s21, v8
	v_cndmask_b32_e32 v7, v12, v7, vcc
	v_cmp_ne_u32_e32 vcc, 0, v7
	v_cndmask_b32_e64 v7, v13, v11, s[0:1]
	v_cndmask_b32_e32 v8, v9, v10, vcc
	v_cndmask_b32_e32 v7, v4, v7, vcc
.LBB0_4:                                ;   in Loop: Header=BB0_2 Depth=1
	s_andn2_saveexec_b64 s[0:1], s[22:23]
	s_cbranch_execz .LBB0_6
; %bb.5:                                ;   in Loop: Header=BB0_2 Depth=1
	v_cvt_f32_u32_e32 v4, s20
	s_sub_i32 s22, 0, s20
	v_rcp_iflag_f32_e32 v4, v4
	v_mul_f32_e32 v4, 0x4f7ffffe, v4
	v_cvt_u32_f32_e32 v4, v4
	v_mul_lo_u32 v7, s22, v4
	v_mul_hi_u32 v7, v4, v7
	v_add_u32_e32 v4, v4, v7
	v_mul_hi_u32 v4, v5, v4
	v_mul_lo_u32 v7, v4, s20
	v_add_u32_e32 v8, 1, v4
	v_sub_u32_e32 v7, v5, v7
	v_subrev_u32_e32 v9, s20, v7
	v_cmp_le_u32_e32 vcc, s20, v7
	v_cndmask_b32_e32 v7, v7, v9, vcc
	v_cndmask_b32_e32 v4, v4, v8, vcc
	v_add_u32_e32 v8, 1, v4
	v_cmp_le_u32_e32 vcc, s20, v7
	v_cndmask_b32_e32 v7, v4, v8, vcc
	v_mov_b32_e32 v8, v3
.LBB0_6:                                ;   in Loop: Header=BB0_2 Depth=1
	s_or_b64 exec, exec, s[0:1]
	v_mul_lo_u32 v4, v8, s20
	v_mul_lo_u32 v11, v7, s21
	v_mad_u64_u32 v[9:10], s[0:1], v7, s20, 0
	s_load_dwordx2 s[0:1], s[6:7], 0x0
	s_add_u32 s18, s18, 1
	v_add3_u32 v4, v10, v11, v4
	v_sub_co_u32_e32 v5, vcc, v5, v9
	v_subb_co_u32_e32 v4, vcc, v6, v4, vcc
	s_waitcnt lgkmcnt(0)
	v_mul_lo_u32 v4, s0, v4
	v_mul_lo_u32 v6, s1, v5
	v_mad_u64_u32 v[1:2], s[0:1], s0, v5, v[1:2]
	s_addc_u32 s19, s19, 0
	s_add_u32 s6, s6, 8
	v_add3_u32 v2, v6, v2, v4
	v_mov_b32_e32 v4, s10
	v_mov_b32_e32 v5, s11
	s_addc_u32 s7, s7, 0
	v_cmp_ge_u64_e32 vcc, s[18:19], v[4:5]
	s_add_u32 s16, s16, 8
	s_addc_u32 s17, s17, 0
	s_cbranch_vccnz .LBB0_9
; %bb.7:                                ;   in Loop: Header=BB0_2 Depth=1
	v_mov_b32_e32 v5, v7
	v_mov_b32_e32 v6, v8
	s_branch .LBB0_2
.LBB0_8:
	v_mov_b32_e32 v8, v6
	v_mov_b32_e32 v7, v5
.LBB0_9:
	s_lshl_b64 s[0:1], s[10:11], 3
	s_add_u32 s0, s14, s0
	s_addc_u32 s1, s15, s1
	s_load_dwordx2 s[6:7], s[0:1], 0x0
	s_load_dwordx2 s[10:11], s[4:5], 0x20
                                        ; implicit-def: $vgpr26
                                        ; implicit-def: $vgpr27
                                        ; implicit-def: $vgpr23
	s_waitcnt lgkmcnt(0)
	v_mad_u64_u32 v[1:2], s[0:1], s6, v7, v[1:2]
	s_mov_b32 s0, 0x8888889
	v_mul_lo_u32 v3, s6, v8
	v_mul_lo_u32 v4, s7, v7
	v_mul_hi_u32 v5, v0, s0
	v_cmp_gt_u64_e32 vcc, s[10:11], v[7:8]
	v_cmp_le_u64_e64 s[0:1], s[10:11], v[7:8]
	v_add3_u32 v2, v4, v2, v3
	v_mul_u32_u24_e32 v3, 30, v5
	v_sub_u32_e32 v22, v0, v3
	v_add_u32_e32 v25, 30, v22
	v_add_u32_e32 v24, 60, v22
	s_and_saveexec_b64 s[4:5], s[0:1]
	s_xor_b64 s[0:1], exec, s[4:5]
; %bb.10:
	v_add_u32_e32 v26, 30, v22
	v_add_u32_e32 v27, 60, v22
	;; [unrolled: 1-line block ×3, first 2 shown]
; %bb.11:
	s_or_saveexec_b64 s[4:5], s[0:1]
	v_lshlrev_b64 v[0:1], 3, v[1:2]
                                        ; implicit-def: $vgpr11
                                        ; implicit-def: $vgpr13
                                        ; implicit-def: $vgpr7
                                        ; implicit-def: $vgpr15
                                        ; implicit-def: $vgpr9
                                        ; implicit-def: $vgpr19
                                        ; implicit-def: $vgpr21
                                        ; implicit-def: $vgpr17
                                        ; implicit-def: $vgpr5
                                        ; implicit-def: $vgpr3
	s_xor_b64 exec, exec, s[4:5]
	s_cbranch_execz .LBB0_13
; %bb.12:
	v_mad_u64_u32 v[2:3], s[0:1], s2, v22, 0
	v_mov_b32_e32 v6, s13
	v_add_u32_e32 v23, 0x5a, v22
	v_mad_u64_u32 v[3:4], s[0:1], s3, v22, v[3:4]
	v_mad_u64_u32 v[4:5], s[0:1], s2, v25, 0
	v_add_co_u32_e64 v10, s[0:1], s12, v0
	v_addc_co_u32_e64 v11, s[0:1], v6, v1, s[0:1]
	v_mad_u64_u32 v[5:6], s[0:1], s3, v25, v[5:6]
	v_mad_u64_u32 v[6:7], s[0:1], s2, v24, 0
	v_lshlrev_b64 v[2:3], 3, v[2:3]
	v_add_co_u32_e64 v26, s[0:1], v10, v2
	v_addc_co_u32_e64 v27, s[0:1], v11, v3, s[0:1]
	v_lshlrev_b64 v[2:3], 3, v[4:5]
	v_mov_b32_e32 v4, v7
	v_mad_u64_u32 v[4:5], s[0:1], s3, v24, v[4:5]
	v_mad_u64_u32 v[8:9], s[0:1], s2, v23, 0
	v_add_co_u32_e64 v29, s[0:1], v10, v2
	v_mov_b32_e32 v7, v4
	v_mov_b32_e32 v4, v9
	v_addc_co_u32_e64 v30, s[0:1], v11, v3, s[0:1]
	v_lshlrev_b64 v[2:3], 3, v[6:7]
	v_mad_u64_u32 v[4:5], s[0:1], s3, v23, v[4:5]
	v_add_u32_e32 v7, 0x78, v22
	v_mad_u64_u32 v[5:6], s[0:1], s2, v7, 0
	v_add_co_u32_e64 v31, s[0:1], v10, v2
	v_mov_b32_e32 v9, v4
	v_mov_b32_e32 v4, v6
	v_addc_co_u32_e64 v32, s[0:1], v11, v3, s[0:1]
	v_lshlrev_b64 v[2:3], 3, v[8:9]
	v_mad_u64_u32 v[6:7], s[0:1], s3, v7, v[4:5]
	v_add_u32_e32 v9, 0x96, v22
	v_mad_u64_u32 v[7:8], s[0:1], s2, v9, 0
	v_add_co_u32_e64 v33, s[0:1], v10, v2
	v_mov_b32_e32 v4, v8
	v_addc_co_u32_e64 v34, s[0:1], v11, v3, s[0:1]
	v_lshlrev_b64 v[2:3], 3, v[5:6]
	v_mad_u64_u32 v[4:5], s[0:1], s3, v9, v[4:5]
	v_add_u32_e32 v9, 0xb4, v22
	v_mad_u64_u32 v[5:6], s[0:1], s2, v9, 0
	v_add_co_u32_e64 v35, s[0:1], v10, v2
	v_mov_b32_e32 v8, v4
	v_mov_b32_e32 v4, v6
	v_addc_co_u32_e64 v36, s[0:1], v11, v3, s[0:1]
	v_lshlrev_b64 v[2:3], 3, v[7:8]
	v_mad_u64_u32 v[6:7], s[0:1], s3, v9, v[4:5]
	v_add_u32_e32 v9, 0xd2, v22
	v_mad_u64_u32 v[7:8], s[0:1], s2, v9, 0
	v_add_co_u32_e64 v37, s[0:1], v10, v2
	;; [unrolled: 15-line block ×3, first 2 shown]
	v_mov_b32_e32 v4, v8
	v_addc_co_u32_e64 v42, s[0:1], v11, v3, s[0:1]
	v_lshlrev_b64 v[2:3], 3, v[5:6]
	v_mad_u64_u32 v[4:5], s[0:1], s3, v9, v[4:5]
	v_add_co_u32_e64 v43, s[0:1], v10, v2
	v_mov_b32_e32 v8, v4
	v_addc_co_u32_e64 v44, s[0:1], v11, v3, s[0:1]
	v_lshlrev_b64 v[2:3], 3, v[7:8]
	v_add_co_u32_e64 v45, s[0:1], v10, v2
	v_addc_co_u32_e64 v46, s[0:1], v11, v3, s[0:1]
	global_load_dwordx2 v[2:3], v[26:27], off
	global_load_dwordx2 v[4:5], v[29:30], off
	;; [unrolled: 1-line block ×10, first 2 shown]
	v_mov_b32_e32 v27, v24
	v_mov_b32_e32 v26, v25
.LBB0_13:
	s_or_b64 exec, exec, s[4:5]
	s_waitcnt vmcnt(5)
	v_sub_f32_e32 v30, v16, v18
	s_waitcnt vmcnt(1)
	v_sub_f32_e32 v31, v12, v14
	v_add_f32_e32 v32, v31, v30
	v_add_f32_e32 v30, v14, v18
	v_fma_f32 v33, -0.5, v30, v2
	v_add_f32_e32 v30, v12, v16
	v_add_f32_e32 v29, v16, v2
	v_fmac_f32_e32 v2, -0.5, v30
	v_sub_f32_e32 v34, v19, v15
	v_mov_b32_e32 v35, v2
	v_sub_f32_e32 v30, v18, v16
	v_sub_f32_e32 v31, v14, v12
	v_fmac_f32_e32 v35, 0x3f737871, v34
	v_sub_f32_e32 v36, v17, v13
	v_fmac_f32_e32 v2, 0xbf737871, v34
	v_add_f32_e32 v30, v31, v30
	v_fmac_f32_e32 v35, 0xbf167918, v36
	v_fmac_f32_e32 v2, 0x3f167918, v36
	;; [unrolled: 1-line block ×4, first 2 shown]
	v_sub_f32_e32 v30, v20, v8
	s_waitcnt vmcnt(0)
	v_sub_f32_e32 v31, v10, v6
	v_add_f32_e32 v37, v31, v30
	v_add_f32_e32 v30, v6, v8
	;; [unrolled: 1-line block ×3, first 2 shown]
	v_fma_f32 v38, -0.5, v30, v4
	v_add_f32_e32 v30, v20, v4
	v_fmac_f32_e32 v4, -0.5, v31
	v_sub_f32_e32 v31, v8, v20
	v_sub_f32_e32 v39, v6, v10
	v_add_f32_e32 v31, v39, v31
	v_sub_f32_e32 v39, v9, v7
	v_mov_b32_e32 v40, v4
	v_fmac_f32_e32 v40, 0x3f737871, v39
	v_sub_f32_e32 v41, v21, v11
	v_fmac_f32_e32 v4, 0xbf737871, v39
	v_fmac_f32_e32 v40, 0xbf167918, v41
	;; [unrolled: 1-line block ×5, first 2 shown]
	v_sub_f32_e32 v31, v21, v9
	v_sub_f32_e32 v42, v11, v7
	v_add_f32_e32 v42, v42, v31
	v_add_f32_e32 v31, v7, v9
	v_fma_f32 v43, -0.5, v31, v5
	v_add_f32_e32 v31, v11, v21
	v_add_f32_e32 v44, v21, v5
	v_fmac_f32_e32 v5, -0.5, v31
	v_sub_f32_e32 v45, v8, v6
	v_mov_b32_e32 v46, v5
	v_add_f32_e32 v8, v8, v30
	v_sub_f32_e32 v20, v20, v10
	v_sub_f32_e32 v21, v9, v21
	;; [unrolled: 1-line block ×3, first 2 shown]
	v_fmac_f32_e32 v46, 0xbf737871, v45
	v_fmac_f32_e32 v5, 0x3f737871, v45
	v_add_f32_e32 v6, v6, v8
	v_add_f32_e32 v21, v31, v21
	v_fmac_f32_e32 v46, 0x3f167918, v20
	v_fmac_f32_e32 v5, 0xbf167918, v20
	v_add_f32_e32 v6, v10, v6
	v_mov_b32_e32 v10, v43
	v_fmac_f32_e32 v46, 0x3e9e377a, v21
	v_fmac_f32_e32 v5, 0x3e9e377a, v21
	v_and_b32_e32 v21, 1, v28
	v_mov_b32_e32 v8, v38
	v_fmac_f32_e32 v10, 0x3f737871, v20
	v_mov_b32_e32 v28, 0x4b0
	v_cmp_eq_u32_e64 s[0:1], 1, v21
	v_mov_b32_e32 v48, v33
	v_fmac_f32_e32 v8, 0xbf737871, v41
	v_fmac_f32_e32 v10, 0x3f167918, v45
	v_cndmask_b32_e64 v21, 0, v28, s[0:1]
	v_add_f32_e32 v28, v18, v29
	v_fmac_f32_e32 v48, 0xbf737871, v36
	v_fmac_f32_e32 v8, 0xbf167918, v39
	;; [unrolled: 1-line block ×3, first 2 shown]
	v_add_f32_e32 v28, v14, v28
	v_fmac_f32_e32 v48, 0xbf167918, v34
	v_fmac_f32_e32 v8, 0x3e9e377a, v37
	v_mul_f32_e32 v49, 0xbf167918, v10
	v_mul_f32_e32 v50, 0xbf737871, v46
	v_mul_f32_e32 v51, 0xbf737871, v5
	v_fmac_f32_e32 v43, 0xbf737871, v20
	v_add_f32_e32 v47, v12, v28
	v_fmac_f32_e32 v48, 0x3e9e377a, v32
	v_fmac_f32_e32 v49, 0x3f4f1bbd, v8
	;; [unrolled: 1-line block ×4, first 2 shown]
	v_mul_u32_u24_e32 v52, 10, v22
	v_add_u32_e32 v53, 0, v21
	v_fmac_f32_e32 v38, 0x3f737871, v41
	v_fmac_f32_e32 v43, 0xbf167918, v45
	v_add_f32_e32 v28, v6, v47
	v_add_f32_e32 v29, v48, v49
	;; [unrolled: 1-line block ×4, first 2 shown]
	v_lshl_add_u32 v52, v52, 2, v53
	v_fmac_f32_e32 v33, 0x3f737871, v36
	v_fmac_f32_e32 v38, 0x3f167918, v39
	;; [unrolled: 1-line block ×3, first 2 shown]
	ds_write2_b64 v52, v[28:29], v[30:31] offset1:1
	v_fmac_f32_e32 v33, 0x3f167918, v34
	v_fmac_f32_e32 v38, 0x3e9e377a, v37
	v_mul_f32_e32 v20, 0xbf167918, v43
	v_sub_f32_e32 v31, v47, v6
	v_add_f32_e32 v6, v17, v3
	v_fmac_f32_e32 v33, 0x3e9e377a, v32
	v_fmac_f32_e32 v20, 0xbf4f1bbd, v38
	v_add_f32_e32 v6, v19, v6
	v_sub_f32_e32 v28, v48, v49
	v_sub_f32_e32 v29, v35, v50
	v_add_f32_e32 v30, v33, v20
	v_add_f32_e32 v6, v15, v6
	ds_write2_b64 v52, v[30:31], v[28:29] offset0:2 offset1:3
	v_add_f32_e32 v28, v15, v19
	v_sub_f32_e32 v18, v18, v14
	v_sub_f32_e32 v14, v17, v19
	;; [unrolled: 1-line block ×4, first 2 shown]
	v_add_f32_e32 v16, v13, v17
	v_sub_f32_e32 v17, v13, v15
	v_sub_f32_e32 v15, v15, v13
	v_add_f32_e32 v13, v13, v6
	v_add_f32_e32 v6, v9, v44
	;; [unrolled: 1-line block ×3, first 2 shown]
	v_fma_f32 v32, -0.5, v28, v3
	v_fmac_f32_e32 v3, -0.5, v16
	v_add_f32_e32 v31, v11, v6
	v_add_f32_e32 v6, v15, v19
	v_mov_b32_e32 v16, v3
	v_mov_b32_e32 v19, v32
	v_fmac_f32_e32 v16, 0xbf737871, v18
	v_fmac_f32_e32 v3, 0x3f737871, v18
	;; [unrolled: 1-line block ×3, first 2 shown]
	v_add_f32_e32 v17, v17, v14
	v_fmac_f32_e32 v16, 0x3f167918, v12
	v_fmac_f32_e32 v3, 0xbf167918, v12
	;; [unrolled: 1-line block ×3, first 2 shown]
	v_mul_f32_e32 v34, 0x3f167918, v8
	v_mul_f32_e32 v35, 0xbe9e377a, v5
	;; [unrolled: 1-line block ×3, first 2 shown]
	v_fmac_f32_e32 v32, 0xbf737871, v12
	v_fmac_f32_e32 v16, 0x3e9e377a, v6
	v_fmac_f32_e32 v3, 0x3e9e377a, v6
	v_fmac_f32_e32 v19, 0x3e9e377a, v17
	v_fmac_f32_e32 v34, 0x3f4f1bbd, v10
	v_fmac_f32_e32 v35, 0x3f737871, v4
	v_fmac_f32_e32 v36, 0x3e9e377a, v46
	v_sub_f32_e32 v6, v2, v51
	v_sub_f32_e32 v7, v33, v20
	s_movk_i32 s0, 0xffdc
	v_fmac_f32_e32 v32, 0xbf167918, v18
	v_mul_f32_e32 v12, 0xbf4f1bbd, v43
	v_add_f32_e32 v4, v31, v13
	v_add_f32_e32 v5, v19, v34
	;; [unrolled: 1-line block ×4, first 2 shown]
	ds_write_b64 v52, v[6:7] offset:32
	v_lshl_add_u32 v7, v22, 2, v53
	v_mad_i32_i24 v8, v22, s0, v52
	v_fmac_f32_e32 v32, 0x3e9e377a, v17
	v_fmac_f32_e32 v12, 0x3f167918, v38
	s_waitcnt lgkmcnt(0)
	; wave barrier
	s_waitcnt lgkmcnt(0)
	v_lshl_add_u32 v9, v26, 2, v53
	v_lshl_add_u32 v28, v27, 2, v53
	;; [unrolled: 1-line block ×3, first 2 shown]
	ds_read_b32 v51, v7
	ds_read_b32 v37, v9
	;; [unrolled: 1-line block ×4, first 2 shown]
	v_add_u32_e32 v20, 0x200, v8
	ds_read2_b32 v[14:15], v8 offset0:120 offset1:150
	ds_read2_b32 v[29:30], v8 offset0:180 offset1:210
	;; [unrolled: 1-line block ×3, first 2 shown]
	s_waitcnt lgkmcnt(0)
	; wave barrier
	s_waitcnt lgkmcnt(0)
	ds_write2_b64 v52, v[4:5], v[10:11] offset1:1
	v_sub_f32_e32 v4, v19, v34
	v_sub_f32_e32 v5, v16, v36
	;; [unrolled: 1-line block ×4, first 2 shown]
	v_add_f32_e32 v10, v32, v12
	s_movk_i32 s0, 0xcd
	v_sub_f32_e32 v3, v32, v12
	ds_write2_b64 v52, v[10:11], v[4:5] offset0:2 offset1:3
	ds_write_b64 v52, v[2:3] offset:32
	v_mul_lo_u16_sdwa v2, v22, s0 dst_sel:DWORD dst_unused:UNUSED_PAD src0_sel:BYTE_0 src1_sel:DWORD
	v_lshrrev_b16_e32 v2, 11, v2
	v_mul_lo_u16_e32 v3, 10, v2
	v_sub_u16_e32 v19, v22, v3
	v_mov_b32_e32 v3, 9
	v_mul_u32_u24_sdwa v3, v19, v3 dst_sel:DWORD dst_unused:UNUSED_PAD src0_sel:BYTE_0 src1_sel:DWORD
	v_lshlrev_b32_e32 v3, 3, v3
	s_waitcnt lgkmcnt(0)
	; wave barrier
	s_waitcnt lgkmcnt(0)
	global_load_dwordx4 v[10:13], v3, s[8:9]
	global_load_dwordx4 v[33:36], v3, s[8:9] offset:16
	global_load_dwordx4 v[41:44], v3, s[8:9] offset:32
	;; [unrolled: 1-line block ×3, first 2 shown]
	global_load_dwordx2 v[4:5], v3, s[8:9] offset:64
	ds_read_b32 v17, v9
	ds_read_b32 v18, v28
	ds_read_b32 v31, v6
	ds_read_b32 v3, v7
	s_movk_i32 s0, 0x190
	v_mad_u32_u24 v2, v2, s0, 0
	s_mov_b32 s7, 0x3f737871
	s_mov_b32 s6, 0x3f167918
	v_cmp_gt_u32_e64 s[0:1], 10, v22
	s_waitcnt vmcnt(4) lgkmcnt(3)
	v_mul_f32_e32 v16, v17, v11
	v_mul_f32_e32 v11, v37, v11
	v_fmac_f32_e32 v16, v37, v10
	v_fma_f32 v17, v17, v10, -v11
	v_mul_f32_e32 v10, v39, v13
	s_waitcnt lgkmcnt(2)
	v_fma_f32 v32, v18, v12, -v10
	ds_read2_b32 v[10:11], v8 offset0:120 offset1:150
	v_mul_f32_e32 v38, v18, v13
	v_fmac_f32_e32 v38, v39, v12
	s_waitcnt vmcnt(3)
	v_mul_f32_e32 v12, v40, v34
	s_waitcnt lgkmcnt(2)
	v_fma_f32 v18, v31, v33, -v12
	v_mul_f32_e32 v12, v14, v36
	v_mul_f32_e32 v52, v31, v34
	s_waitcnt lgkmcnt(0)
	v_fma_f32 v34, v10, v35, -v12
	ds_read2_b32 v[12:13], v8 offset0:180 offset1:210
	v_fmac_f32_e32 v52, v40, v33
	v_mul_f32_e32 v40, v10, v36
	s_waitcnt vmcnt(2)
	v_mul_f32_e32 v10, v15, v42
	v_fma_f32 v33, v11, v41, -v10
	v_mul_f32_e32 v10, v29, v44
	v_fmac_f32_e32 v40, v14, v35
	v_mul_f32_e32 v14, v11, v42
	s_waitcnt lgkmcnt(0)
	v_fma_f32 v36, v12, v43, -v10
	ds_read2_b32 v[10:11], v20 offset0:112 offset1:142
	v_fmac_f32_e32 v14, v15, v41
	s_waitcnt vmcnt(1)
	v_mul_f32_e32 v15, v30, v46
	v_mul_f32_e32 v41, v12, v44
	;; [unrolled: 1-line block ×3, first 2 shown]
	v_fma_f32 v35, v13, v45, -v15
	v_mul_f32_e32 v13, v49, v48
	s_waitcnt lgkmcnt(0)
	v_mul_f32_e32 v44, v10, v48
	v_fma_f32 v39, v10, v47, -v13
	s_waitcnt vmcnt(0)
	v_mul_f32_e32 v10, v11, v5
	v_mul_f32_e32 v5, v50, v5
	v_fmac_f32_e32 v10, v50, v4
	v_fma_f32 v37, v11, v4, -v5
	v_mov_b32_e32 v4, 2
	v_lshlrev_b32_sdwa v4, v4, v19 dst_sel:DWORD dst_unused:UNUSED_PAD src0_sel:DWORD src1_sel:BYTE_0
	v_add3_u32 v19, v2, v4, v21
	v_add_f32_e32 v21, v16, v52
	v_fmac_f32_e32 v12, v30, v45
	v_add_f32_e32 v21, v21, v14
	v_fmac_f32_e32 v41, v29, v43
	v_fmac_f32_e32 v44, v49, v47
	v_add_f32_e32 v21, v21, v12
	v_add_f32_e32 v42, v33, v35
	v_sub_f32_e32 v2, v38, v40
	v_sub_f32_e32 v4, v44, v41
	v_add_f32_e32 v31, v21, v10
	v_add_f32_e32 v21, v14, v12
	v_fma_f32 v42, -0.5, v42, v17
	v_add_f32_e32 v2, v2, v4
	v_sub_f32_e32 v4, v52, v14
	v_sub_f32_e32 v5, v10, v12
	v_add_f32_e32 v13, v40, v41
	v_fma_f32 v21, -0.5, v21, v16
	v_sub_f32_e32 v53, v52, v10
	v_mov_b32_e32 v45, v42
	v_add_f32_e32 v4, v4, v5
	v_sub_f32_e32 v5, v18, v33
	v_sub_f32_e32 v11, v37, v35
	v_fma_f32 v13, -0.5, v13, v51
	v_sub_f32_e32 v49, v18, v37
	v_mov_b32_e32 v43, v21
	v_fmac_f32_e32 v45, 0x3f737871, v53
	v_sub_f32_e32 v54, v14, v12
	v_add_f32_e32 v5, v5, v11
	v_add_f32_e32 v11, v51, v38
	v_sub_f32_e32 v15, v32, v39
	v_mov_b32_e32 v29, v13
	v_fmac_f32_e32 v43, 0xbf737871, v49
	v_sub_f32_e32 v50, v33, v35
	v_fmac_f32_e32 v45, 0x3f167918, v54
	v_add_f32_e32 v11, v11, v40
	v_fmac_f32_e32 v29, 0xbf737871, v15
	v_sub_f32_e32 v30, v34, v36
	v_fmac_f32_e32 v43, 0xbf167918, v50
	v_fmac_f32_e32 v45, 0x3e9e377a, v5
	v_add_f32_e32 v11, v11, v41
	v_fmac_f32_e32 v29, 0xbf167918, v30
	v_fmac_f32_e32 v43, 0x3e9e377a, v4
	v_mul_f32_e32 v55, 0xbf167918, v45
	v_add_f32_e32 v11, v11, v44
	v_fmac_f32_e32 v29, 0x3e9e377a, v2
	v_fmac_f32_e32 v55, 0x3f4f1bbd, v43
	v_add_f32_e32 v46, v11, v31
	v_add_f32_e32 v47, v29, v55
	s_waitcnt lgkmcnt(0)
	; wave barrier
	ds_write2_b32 v19, v46, v47 offset1:10
	v_add_f32_e32 v46, v38, v44
	v_fmac_f32_e32 v51, -0.5, v46
	v_mov_b32_e32 v56, v51
	v_sub_f32_e32 v46, v40, v38
	v_sub_f32_e32 v47, v41, v44
	v_fmac_f32_e32 v56, 0x3f737871, v30
	v_fmac_f32_e32 v51, 0xbf737871, v30
	v_add_f32_e32 v46, v46, v47
	v_fmac_f32_e32 v56, 0xbf167918, v15
	v_fmac_f32_e32 v51, 0x3f167918, v15
	;; [unrolled: 1-line block ×4, first 2 shown]
	v_add_f32_e32 v46, v52, v10
	v_fmac_f32_e32 v16, -0.5, v46
	v_mov_b32_e32 v46, v16
	v_sub_f32_e32 v14, v14, v52
	v_sub_f32_e32 v10, v12, v10
	v_fmac_f32_e32 v46, 0x3f737871, v50
	v_fmac_f32_e32 v16, 0xbf737871, v50
	v_add_f32_e32 v10, v14, v10
	v_fmac_f32_e32 v46, 0xbf167918, v49
	v_fmac_f32_e32 v16, 0x3f167918, v49
	;; [unrolled: 1-line block ×4, first 2 shown]
	v_sub_f32_e32 v10, v33, v18
	v_sub_f32_e32 v12, v35, v37
	v_add_f32_e32 v10, v10, v12
	v_add_f32_e32 v12, v18, v37
	v_fma_f32 v47, -0.5, v12, v17
	v_mov_b32_e32 v48, v47
	v_fmac_f32_e32 v42, 0xbf737871, v53
	v_fmac_f32_e32 v48, 0xbf737871, v54
	v_fmac_f32_e32 v21, 0x3f737871, v49
	v_fmac_f32_e32 v42, 0xbf167918, v54
	v_fmac_f32_e32 v48, 0x3f167918, v53
	v_fmac_f32_e32 v47, 0x3f737871, v54
	v_fmac_f32_e32 v13, 0x3f737871, v15
	v_fmac_f32_e32 v21, 0x3f167918, v50
	v_fmac_f32_e32 v42, 0x3e9e377a, v5
	v_fmac_f32_e32 v48, 0x3e9e377a, v10
	v_fmac_f32_e32 v47, 0xbf167918, v53
	v_fmac_f32_e32 v13, 0x3f167918, v30
	v_fmac_f32_e32 v21, 0x3e9e377a, v4
	v_mul_f32_e32 v4, 0xbf167918, v42
	v_fmac_f32_e32 v47, 0x3e9e377a, v10
	v_mul_f32_e32 v10, 0xbf737871, v48
	v_fmac_f32_e32 v13, 0x3e9e377a, v2
	v_fmac_f32_e32 v4, 0xbf4f1bbd, v21
	;; [unrolled: 1-line block ×3, first 2 shown]
	v_mul_f32_e32 v12, 0xbf737871, v47
	v_sub_f32_e32 v2, v11, v31
	v_add_f32_e32 v5, v13, v4
	v_fmac_f32_e32 v12, 0xbe9e377a, v16
	ds_write2_b32 v19, v5, v2 offset0:40 offset1:50
	v_sub_f32_e32 v2, v29, v55
	v_sub_f32_e32 v5, v56, v10
	v_add_f32_e32 v14, v56, v10
	v_add_f32_e32 v52, v51, v12
	ds_write2_b32 v19, v2, v5 offset0:60 offset1:70
	v_sub_f32_e32 v5, v51, v12
	v_sub_f32_e32 v2, v13, v4
	ds_write2_b32 v19, v14, v52 offset0:20 offset1:30
	ds_write2_b32 v19, v5, v2 offset0:80 offset1:90
	s_waitcnt lgkmcnt(0)
	; wave barrier
	s_waitcnt lgkmcnt(0)
	ds_read_b32 v29, v7
	ds_read_b32 v30, v9
	;; [unrolled: 1-line block ×3, first 2 shown]
	ds_read2_b32 v[10:11], v8 offset0:100 offset1:130
	ds_read2_b32 v[12:13], v8 offset0:160 offset1:200
	;; [unrolled: 1-line block ×3, first 2 shown]
                                        ; implicit-def: $vgpr5
	s_and_saveexec_b64 s[4:5], s[0:1]
	s_cbranch_execz .LBB0_15
; %bb.14:
	ds_read_b32 v2, v6
	ds_read2_b32 v[4:5], v20 offset0:62 offset1:162
.LBB0_15:
	s_or_b64 exec, exec, s[4:5]
	v_add_f32_e32 v50, v34, v36
	v_fma_f32 v50, -0.5, v50, v3
	v_sub_f32_e32 v38, v38, v44
	v_mov_b32_e32 v44, v50
	v_fmac_f32_e32 v44, 0x3f737871, v38
	v_sub_f32_e32 v40, v40, v41
	v_sub_f32_e32 v41, v32, v34
	;; [unrolled: 1-line block ×3, first 2 shown]
	v_fmac_f32_e32 v50, 0xbf737871, v38
	v_fmac_f32_e32 v44, 0x3f167918, v40
	v_add_f32_e32 v41, v41, v51
	v_fmac_f32_e32 v50, 0xbf167918, v40
	v_fmac_f32_e32 v44, 0x3e9e377a, v41
	;; [unrolled: 1-line block ×3, first 2 shown]
	v_add_f32_e32 v41, v32, v39
	v_add_f32_e32 v49, v3, v32
	v_fmac_f32_e32 v3, -0.5, v41
	v_mov_b32_e32 v41, v3
	v_add_f32_e32 v49, v49, v34
	v_fmac_f32_e32 v41, 0xbf737871, v40
	v_sub_f32_e32 v32, v34, v32
	v_sub_f32_e32 v34, v36, v39
	v_fmac_f32_e32 v3, 0x3f737871, v40
	v_add_f32_e32 v17, v17, v18
	v_fmac_f32_e32 v41, 0x3f167918, v38
	v_add_f32_e32 v32, v32, v34
	;; [unrolled: 2-line block ×3, first 2 shown]
	v_add_f32_e32 v49, v49, v36
	v_fmac_f32_e32 v41, 0x3e9e377a, v32
	v_fmac_f32_e32 v3, 0x3e9e377a, v32
	v_add_f32_e32 v17, v17, v35
	v_mul_f32_e32 v32, 0x3f4f1bbd, v45
	v_mul_f32_e32 v36, 0x3e9e377a, v47
	v_add_f32_e32 v49, v49, v39
	v_add_f32_e32 v17, v17, v37
	v_fmac_f32_e32 v32, 0x3f167918, v43
	v_mul_f32_e32 v34, 0x3e9e377a, v48
	v_fma_f32 v16, v16, s7, -v36
	v_mul_f32_e32 v37, 0x3f4f1bbd, v42
	v_add_f32_e32 v18, v49, v17
	v_add_f32_e32 v33, v44, v32
	v_fmac_f32_e32 v34, 0x3f737871, v46
	v_add_f32_e32 v36, v3, v16
	v_fma_f32 v21, v21, s6, -v37
	v_sub_f32_e32 v17, v49, v17
	v_sub_f32_e32 v32, v44, v32
	;; [unrolled: 1-line block ×3, first 2 shown]
	v_add_f32_e32 v35, v41, v34
	v_add_f32_e32 v37, v50, v21
	v_sub_f32_e32 v34, v41, v34
	v_sub_f32_e32 v3, v50, v21
	s_waitcnt lgkmcnt(0)
	; wave barrier
	s_waitcnt lgkmcnt(0)
	ds_write2_b32 v19, v18, v33 offset1:10
	ds_write2_b32 v19, v35, v36 offset0:20 offset1:30
	ds_write2_b32 v19, v37, v17 offset0:40 offset1:50
	;; [unrolled: 1-line block ×4, first 2 shown]
	s_waitcnt lgkmcnt(0)
	; wave barrier
	s_waitcnt lgkmcnt(0)
	ds_read2_b32 v[16:17], v8 offset0:100 offset1:130
	ds_read2_b32 v[18:19], v8 offset0:160 offset1:200
	;; [unrolled: 1-line block ×3, first 2 shown]
	ds_read_b32 v32, v7
	ds_read_b32 v33, v9
	;; [unrolled: 1-line block ×3, first 2 shown]
                                        ; implicit-def: $vgpr7
	s_and_saveexec_b64 s[4:5], s[0:1]
	s_cbranch_execz .LBB0_17
; %bb.16:
	ds_read_b32 v3, v6
	v_add_u32_e32 v6, 0x200, v8
	ds_read2_b32 v[6:7], v6 offset0:62 offset1:162
.LBB0_17:
	s_or_b64 exec, exec, s[4:5]
	s_and_saveexec_b64 s[4:5], vcc
	s_cbranch_execz .LBB0_20
; %bb.18:
	v_lshlrev_b32_e32 v8, 1, v27
	v_mov_b32_e32 v9, 0
	v_lshlrev_b64 v[34:35], 3, v[8:9]
	v_lshlrev_b32_e32 v8, 1, v26
	v_mov_b32_e32 v42, s9
	v_add_co_u32_e32 v34, vcc, s8, v34
	v_lshlrev_b64 v[26:27], 3, v[8:9]
	v_addc_co_u32_e32 v35, vcc, v42, v35, vcc
	v_add_co_u32_e32 v26, vcc, s8, v26
	v_addc_co_u32_e32 v27, vcc, v42, v27, vcc
	v_lshlrev_b32_e32 v8, 1, v22
	global_load_dwordx4 v[34:37], v[34:35], off offset:720
	s_movk_i32 s6, 0xc8
	global_load_dwordx4 v[38:41], v[26:27], off offset:720
	v_lshlrev_b64 v[26:27], 3, v[8:9]
	v_add_co_u32_e32 v26, vcc, s8, v26
	v_addc_co_u32_e32 v27, vcc, v42, v27, vcc
	global_load_dwordx4 v[42:45], v[26:27], off offset:720
	v_mad_u64_u32 v[26:27], s[4:5], s2, v22, 0
	v_add_co_u32_e32 v0, vcc, s12, v0
	s_waitcnt vmcnt(2)
	v_mul_f32_e32 v8, v12, v35
	v_mul_f32_e32 v46, v15, v37
	s_waitcnt lgkmcnt(4)
	v_mul_f32_e32 v35, v18, v35
	s_waitcnt lgkmcnt(3)
	v_mul_f32_e32 v37, v21, v37
	v_fma_f32 v8, v18, v34, -v8
	v_fmac_f32_e32 v35, v12, v34
	v_fmac_f32_e32 v37, v15, v36
	s_waitcnt vmcnt(1)
	v_mul_f32_e32 v12, v11, v39
	v_mul_f32_e32 v15, v14, v41
	v_fma_f32 v18, v21, v36, -v46
	v_mul_f32_e32 v21, v17, v39
	v_mul_f32_e32 v34, v20, v41
	s_waitcnt lgkmcnt(0)
	v_add_f32_e32 v41, v28, v8
	v_add_f32_e32 v46, v35, v37
	v_fma_f32 v17, v17, v38, -v12
	v_fma_f32 v20, v20, v40, -v15
	v_add_f32_e32 v36, v8, v18
	v_sub_f32_e32 v8, v8, v18
	v_fmac_f32_e32 v21, v11, v38
	v_fmac_f32_e32 v34, v14, v40
	s_waitcnt vmcnt(0)
	v_mul_f32_e32 v38, v10, v43
	v_mul_f32_e32 v40, v13, v45
	v_add_f32_e32 v15, v41, v18
	v_fma_f32 v11, -0.5, v46, v31
	v_add_f32_e32 v18, v17, v20
	v_sub_f32_e32 v39, v35, v37
	v_add_f32_e32 v35, v31, v35
	v_mul_f32_e32 v43, v16, v43
	v_mul_f32_e32 v45, v19, v45
	v_add_f32_e32 v31, v33, v17
	v_fma_f32 v38, v16, v42, -v38
	v_fma_f32 v40, v19, v44, -v40
	v_mov_b32_e32 v16, v11
	v_fma_f32 v19, -0.5, v18, v33
	v_fma_f32 v12, -0.5, v36, v28
	v_add_f32_e32 v14, v35, v37
	v_sub_f32_e32 v28, v21, v34
	v_add_f32_e32 v35, v21, v34
	v_add_f32_e32 v37, v30, v21
	v_fmac_f32_e32 v43, v10, v42
	v_fmac_f32_e32 v45, v13, v44
	v_fmac_f32_e32 v11, 0xbf5db3d7, v8
	v_add_f32_e32 v21, v31, v20
	v_add_f32_e32 v10, v38, v40
	v_fmac_f32_e32 v16, 0x3f5db3d7, v8
	v_mov_b32_e32 v31, v19
	v_mov_b32_e32 v8, v27
	v_sub_f32_e32 v36, v17, v20
	v_add_f32_e32 v20, v37, v34
	v_add_f32_e32 v37, v43, v45
	v_fmac_f32_e32 v19, 0x3f5db3d7, v28
	v_fma_f32 v33, -0.5, v10, v32
	v_fmac_f32_e32 v31, 0xbf5db3d7, v28
	v_mad_u64_u32 v[27:28], s[4:5], s3, v22, v[8:9]
	v_add_u32_e32 v10, 0x64, v22
	v_add_f32_e32 v34, v32, v38
	v_fma_f32 v32, -0.5, v37, v29
	v_add_f32_e32 v8, v29, v43
	v_mad_u64_u32 v[28:29], s[4:5], s2, v10, 0
	v_fma_f32 v18, -0.5, v35, v30
	v_mov_b32_e32 v30, v18
	v_add_f32_e32 v35, v34, v40
	v_add_f32_e32 v34, v8, v45
	v_mov_b32_e32 v8, s13
	v_mov_b32_e32 v17, v12
	v_sub_f32_e32 v38, v38, v40
	v_fmac_f32_e32 v18, 0xbf5db3d7, v36
	v_fmac_f32_e32 v30, 0x3f5db3d7, v36
	v_mov_b32_e32 v36, v32
	v_addc_co_u32_e32 v1, vcc, v8, v1, vcc
	v_mov_b32_e32 v8, v29
	v_fmac_f32_e32 v12, 0x3f5db3d7, v39
	v_fmac_f32_e32 v17, 0xbf5db3d7, v39
	;; [unrolled: 1-line block ×4, first 2 shown]
	v_mad_u64_u32 v[38:39], s[4:5], s3, v10, v[8:9]
	v_add_u32_e32 v10, 0xc8, v22
	v_mad_u64_u32 v[39:40], s[4:5], s2, v10, 0
	v_lshlrev_b64 v[26:27], 3, v[26:27]
	v_mov_b32_e32 v29, v38
	v_add_co_u32_e32 v26, vcc, v0, v26
	v_addc_co_u32_e32 v27, vcc, v1, v27, vcc
	v_mov_b32_e32 v8, v40
	global_store_dwordx2 v[26:27], v[34:35], off
	v_lshlrev_b64 v[26:27], 3, v[28:29]
	v_mad_u64_u32 v[28:29], s[4:5], s3, v10, v[8:9]
	v_sub_f32_e32 v13, v43, v45
	v_add_co_u32_e32 v26, vcc, v0, v26
	v_mov_b32_e32 v40, v28
	v_mad_u64_u32 v[28:29], s[4:5], s2, v25, 0
	v_mov_b32_e32 v37, v33
	v_fmac_f32_e32 v33, 0x3f5db3d7, v13
	v_addc_co_u32_e32 v27, vcc, v1, v27, vcc
	v_mov_b32_e32 v8, v29
	global_store_dwordx2 v[26:27], v[32:33], off
	v_mad_u64_u32 v[32:33], s[4:5], s3, v25, v[8:9]
	v_lshlrev_b64 v[26:27], 3, v[39:40]
	v_add_u32_e32 v10, 0x82, v22
	v_add_co_u32_e32 v26, vcc, v0, v26
	v_mad_u64_u32 v[33:34], s[4:5], s2, v10, 0
	v_fmac_f32_e32 v37, 0xbf5db3d7, v13
	v_addc_co_u32_e32 v27, vcc, v1, v27, vcc
	v_mov_b32_e32 v29, v32
	global_store_dwordx2 v[26:27], v[36:37], off
	v_lshlrev_b64 v[25:26], 3, v[28:29]
	v_mov_b32_e32 v8, v34
	v_add_co_u32_e32 v25, vcc, v0, v25
	v_mad_u64_u32 v[27:28], s[4:5], s3, v10, v[8:9]
	v_addc_co_u32_e32 v26, vcc, v1, v26, vcc
	v_add_u32_e32 v10, 0xe6, v22
	global_store_dwordx2 v[25:26], v[20:21], off
	v_mad_u64_u32 v[25:26], s[4:5], s2, v10, 0
	s_mov_b32 s4, 0x51eb851f
	v_mul_hi_u32 v13, v24, s4
	v_mov_b32_e32 v8, v26
	v_mov_b32_e32 v34, v27
	v_mad_u64_u32 v[26:27], s[4:5], s3, v10, v[8:9]
	v_lshrrev_b32_e32 v8, 5, v13
	v_mad_u32_u24 v10, v8, s6, v24
	v_mad_u64_u32 v[27:28], s[4:5], s2, v10, 0
	v_lshlrev_b64 v[20:21], 3, v[33:34]
	v_add_u32_e32 v13, 0x64, v10
	v_add_co_u32_e32 v20, vcc, v0, v20
	v_addc_co_u32_e32 v21, vcc, v1, v21, vcc
	v_mov_b32_e32 v8, v28
	global_store_dwordx2 v[20:21], v[18:19], off
	v_mad_u64_u32 v[20:21], s[4:5], s3, v10, v[8:9]
	v_lshlrev_b64 v[18:19], 3, v[25:26]
	v_add_u32_e32 v10, 0xc8, v10
	v_mov_b32_e32 v28, v20
	v_mad_u64_u32 v[20:21], s[4:5], s2, v13, 0
	v_add_co_u32_e32 v18, vcc, v0, v18
	v_mov_b32_e32 v8, v21
	v_mad_u64_u32 v[24:25], s[4:5], s3, v13, v[8:9]
	v_addc_co_u32_e32 v19, vcc, v1, v19, vcc
	v_mad_u64_u32 v[25:26], s[4:5], s2, v10, 0
	global_store_dwordx2 v[18:19], v[30:31], off
	v_lshlrev_b64 v[18:19], 3, v[27:28]
	v_mov_b32_e32 v8, v26
	v_add_co_u32_e32 v18, vcc, v0, v18
	v_addc_co_u32_e32 v19, vcc, v1, v19, vcc
	global_store_dwordx2 v[18:19], v[14:15], off
	v_mov_b32_e32 v21, v24
	v_mad_u64_u32 v[18:19], s[4:5], s3, v10, v[8:9]
	v_lshlrev_b64 v[13:14], 3, v[20:21]
	v_add_co_u32_e32 v13, vcc, v0, v13
	v_addc_co_u32_e32 v14, vcc, v1, v14, vcc
	v_mov_b32_e32 v26, v18
	global_store_dwordx2 v[13:14], v[11:12], off
	v_lshlrev_b64 v[10:11], 3, v[25:26]
	v_add_co_u32_e32 v10, vcc, v0, v10
	v_addc_co_u32_e32 v11, vcc, v1, v11, vcc
	global_store_dwordx2 v[10:11], v[16:17], off
	s_and_b64 exec, exec, s[0:1]
	s_cbranch_execz .LBB0_20
; %bb.19:
	v_add_u32_e32 v8, -10, v22
	v_cndmask_b32_e64 v8, v8, v23, s[0:1]
	v_lshlrev_b32_e32 v8, 1, v8
	v_lshlrev_b64 v[8:9], 3, v[8:9]
	v_mov_b32_e32 v10, s9
	v_add_co_u32_e32 v8, vcc, s8, v8
	v_addc_co_u32_e32 v9, vcc, v10, v9, vcc
	global_load_dwordx4 v[8:11], v[8:9], off offset:720
	v_add_u32_e32 v18, 0x5a, v22
	v_add_u32_e32 v20, 0xbe, v22
	v_mad_u64_u32 v[12:13], s[0:1], s2, v18, 0
	v_mad_u64_u32 v[14:15], s[0:1], s2, v20, 0
	v_add_u32_e32 v21, 0x122, v22
	v_mad_u64_u32 v[16:17], s[0:1], s2, v21, 0
	v_mad_u64_u32 v[18:19], s[0:1], s3, v18, v[13:14]
	;; [unrolled: 1-line block ×4, first 2 shown]
	v_mov_b32_e32 v13, v18
	v_lshlrev_b64 v[12:13], 3, v[12:13]
	v_mov_b32_e32 v15, v19
	v_lshlrev_b64 v[14:15], 3, v[14:15]
	v_add_co_u32_e32 v12, vcc, v0, v12
	v_mov_b32_e32 v17, v20
	v_addc_co_u32_e32 v13, vcc, v1, v13, vcc
	v_lshlrev_b64 v[16:17], 3, v[16:17]
	v_add_co_u32_e32 v14, vcc, v0, v14
	v_addc_co_u32_e32 v15, vcc, v1, v15, vcc
	v_add_co_u32_e32 v0, vcc, v0, v16
	v_addc_co_u32_e32 v1, vcc, v1, v17, vcc
	s_waitcnt vmcnt(0)
	v_mul_f32_e32 v16, v6, v9
	v_mul_f32_e32 v9, v4, v9
	;; [unrolled: 1-line block ×4, first 2 shown]
	v_fmac_f32_e32 v16, v4, v8
	v_fma_f32 v4, v6, v8, -v9
	v_fmac_f32_e32 v17, v5, v10
	v_fma_f32 v5, v7, v10, -v11
	v_add_f32_e32 v7, v16, v17
	v_add_f32_e32 v10, v4, v5
	;; [unrolled: 1-line block ×4, first 2 shown]
	v_fmac_f32_e32 v2, -0.5, v7
	v_fmac_f32_e32 v3, -0.5, v10
	v_sub_f32_e32 v8, v4, v5
	v_sub_f32_e32 v11, v16, v17
	v_add_f32_e32 v4, v6, v17
	v_mov_b32_e32 v6, v2
	v_mov_b32_e32 v7, v3
	v_add_f32_e32 v5, v9, v5
	v_fmac_f32_e32 v6, 0xbf5db3d7, v8
	v_fmac_f32_e32 v7, 0x3f5db3d7, v11
	;; [unrolled: 1-line block ×4, first 2 shown]
	global_store_dwordx2 v[12:13], v[4:5], off
	global_store_dwordx2 v[14:15], v[6:7], off
	;; [unrolled: 1-line block ×3, first 2 shown]
.LBB0_20:
	s_endpgm
	.section	.rodata,"a",@progbits
	.p2align	6, 0x0
	.amdhsa_kernel fft_rtc_back_len300_factors_10_10_3_wgs_60_tpt_30_halfLds_sp_ip_CI_sbrr_dirReg
		.amdhsa_group_segment_fixed_size 0
		.amdhsa_private_segment_fixed_size 0
		.amdhsa_kernarg_size 88
		.amdhsa_user_sgpr_count 6
		.amdhsa_user_sgpr_private_segment_buffer 1
		.amdhsa_user_sgpr_dispatch_ptr 0
		.amdhsa_user_sgpr_queue_ptr 0
		.amdhsa_user_sgpr_kernarg_segment_ptr 1
		.amdhsa_user_sgpr_dispatch_id 0
		.amdhsa_user_sgpr_flat_scratch_init 0
		.amdhsa_user_sgpr_private_segment_size 0
		.amdhsa_uses_dynamic_stack 0
		.amdhsa_system_sgpr_private_segment_wavefront_offset 0
		.amdhsa_system_sgpr_workgroup_id_x 1
		.amdhsa_system_sgpr_workgroup_id_y 0
		.amdhsa_system_sgpr_workgroup_id_z 0
		.amdhsa_system_sgpr_workgroup_info 0
		.amdhsa_system_vgpr_workitem_id 0
		.amdhsa_next_free_vgpr 57
		.amdhsa_next_free_sgpr 24
		.amdhsa_reserve_vcc 1
		.amdhsa_reserve_flat_scratch 0
		.amdhsa_float_round_mode_32 0
		.amdhsa_float_round_mode_16_64 0
		.amdhsa_float_denorm_mode_32 3
		.amdhsa_float_denorm_mode_16_64 3
		.amdhsa_dx10_clamp 1
		.amdhsa_ieee_mode 1
		.amdhsa_fp16_overflow 0
		.amdhsa_exception_fp_ieee_invalid_op 0
		.amdhsa_exception_fp_denorm_src 0
		.amdhsa_exception_fp_ieee_div_zero 0
		.amdhsa_exception_fp_ieee_overflow 0
		.amdhsa_exception_fp_ieee_underflow 0
		.amdhsa_exception_fp_ieee_inexact 0
		.amdhsa_exception_int_div_zero 0
	.end_amdhsa_kernel
	.text
.Lfunc_end0:
	.size	fft_rtc_back_len300_factors_10_10_3_wgs_60_tpt_30_halfLds_sp_ip_CI_sbrr_dirReg, .Lfunc_end0-fft_rtc_back_len300_factors_10_10_3_wgs_60_tpt_30_halfLds_sp_ip_CI_sbrr_dirReg
                                        ; -- End function
	.section	.AMDGPU.csdata,"",@progbits
; Kernel info:
; codeLenInByte = 5868
; NumSgprs: 28
; NumVgprs: 57
; ScratchSize: 0
; MemoryBound: 0
; FloatMode: 240
; IeeeMode: 1
; LDSByteSize: 0 bytes/workgroup (compile time only)
; SGPRBlocks: 3
; VGPRBlocks: 14
; NumSGPRsForWavesPerEU: 28
; NumVGPRsForWavesPerEU: 57
; Occupancy: 4
; WaveLimiterHint : 1
; COMPUTE_PGM_RSRC2:SCRATCH_EN: 0
; COMPUTE_PGM_RSRC2:USER_SGPR: 6
; COMPUTE_PGM_RSRC2:TRAP_HANDLER: 0
; COMPUTE_PGM_RSRC2:TGID_X_EN: 1
; COMPUTE_PGM_RSRC2:TGID_Y_EN: 0
; COMPUTE_PGM_RSRC2:TGID_Z_EN: 0
; COMPUTE_PGM_RSRC2:TIDIG_COMP_CNT: 0
	.type	__hip_cuid_bcf2617e18425f2b,@object ; @__hip_cuid_bcf2617e18425f2b
	.section	.bss,"aw",@nobits
	.globl	__hip_cuid_bcf2617e18425f2b
__hip_cuid_bcf2617e18425f2b:
	.byte	0                               ; 0x0
	.size	__hip_cuid_bcf2617e18425f2b, 1

	.ident	"AMD clang version 19.0.0git (https://github.com/RadeonOpenCompute/llvm-project roc-6.4.0 25133 c7fe45cf4b819c5991fe208aaa96edf142730f1d)"
	.section	".note.GNU-stack","",@progbits
	.addrsig
	.addrsig_sym __hip_cuid_bcf2617e18425f2b
	.amdgpu_metadata
---
amdhsa.kernels:
  - .args:
      - .actual_access:  read_only
        .address_space:  global
        .offset:         0
        .size:           8
        .value_kind:     global_buffer
      - .offset:         8
        .size:           8
        .value_kind:     by_value
      - .actual_access:  read_only
        .address_space:  global
        .offset:         16
        .size:           8
        .value_kind:     global_buffer
      - .actual_access:  read_only
        .address_space:  global
        .offset:         24
        .size:           8
        .value_kind:     global_buffer
      - .offset:         32
        .size:           8
        .value_kind:     by_value
      - .actual_access:  read_only
        .address_space:  global
        .offset:         40
        .size:           8
        .value_kind:     global_buffer
      - .actual_access:  read_only
        .address_space:  global
        .offset:         48
        .size:           8
        .value_kind:     global_buffer
      - .offset:         56
        .size:           4
        .value_kind:     by_value
      - .actual_access:  read_only
        .address_space:  global
        .offset:         64
        .size:           8
        .value_kind:     global_buffer
      - .actual_access:  read_only
        .address_space:  global
        .offset:         72
        .size:           8
        .value_kind:     global_buffer
      - .address_space:  global
        .offset:         80
        .size:           8
        .value_kind:     global_buffer
    .group_segment_fixed_size: 0
    .kernarg_segment_align: 8
    .kernarg_segment_size: 88
    .language:       OpenCL C
    .language_version:
      - 2
      - 0
    .max_flat_workgroup_size: 60
    .name:           fft_rtc_back_len300_factors_10_10_3_wgs_60_tpt_30_halfLds_sp_ip_CI_sbrr_dirReg
    .private_segment_fixed_size: 0
    .sgpr_count:     28
    .sgpr_spill_count: 0
    .symbol:         fft_rtc_back_len300_factors_10_10_3_wgs_60_tpt_30_halfLds_sp_ip_CI_sbrr_dirReg.kd
    .uniform_work_group_size: 1
    .uses_dynamic_stack: false
    .vgpr_count:     57
    .vgpr_spill_count: 0
    .wavefront_size: 64
amdhsa.target:   amdgcn-amd-amdhsa--gfx906
amdhsa.version:
  - 1
  - 2
...

	.end_amdgpu_metadata
